;; amdgpu-corpus repo=ROCm/rocFFT kind=compiled arch=gfx950 opt=O3
	.text
	.amdgcn_target "amdgcn-amd-amdhsa--gfx950"
	.amdhsa_code_object_version 6
	.protected	fft_rtc_fwd_len594_factors_11_3_6_3_wgs_99_tpt_99_dp_op_CI_CI_unitstride_sbrr_dirReg ; -- Begin function fft_rtc_fwd_len594_factors_11_3_6_3_wgs_99_tpt_99_dp_op_CI_CI_unitstride_sbrr_dirReg
	.globl	fft_rtc_fwd_len594_factors_11_3_6_3_wgs_99_tpt_99_dp_op_CI_CI_unitstride_sbrr_dirReg
	.p2align	8
	.type	fft_rtc_fwd_len594_factors_11_3_6_3_wgs_99_tpt_99_dp_op_CI_CI_unitstride_sbrr_dirReg,@function
fft_rtc_fwd_len594_factors_11_3_6_3_wgs_99_tpt_99_dp_op_CI_CI_unitstride_sbrr_dirReg: ; @fft_rtc_fwd_len594_factors_11_3_6_3_wgs_99_tpt_99_dp_op_CI_CI_unitstride_sbrr_dirReg
; %bb.0:
	s_load_dwordx4 s[4:7], s[0:1], 0x58
	s_load_dwordx4 s[8:11], s[0:1], 0x0
	;; [unrolled: 1-line block ×3, first 2 shown]
	v_mul_u32_u24_e32 v1, 0x296, v0
	v_add_u32_sdwa v6, s2, v1 dst_sel:DWORD dst_unused:UNUSED_PAD src0_sel:DWORD src1_sel:WORD_1
	v_mov_b32_e32 v2, 0
	s_waitcnt lgkmcnt(0)
	v_cmp_lt_u64_e64 s[2:3], s[10:11], 2
	v_mov_b32_e32 v7, v2
	s_and_b64 vcc, exec, s[2:3]
	v_mov_b64_e32 v[4:5], 0
	s_cbranch_vccnz .LBB0_8
; %bb.1:
	s_load_dwordx2 s[2:3], s[0:1], 0x10
	s_add_u32 s16, s14, 8
	s_addc_u32 s17, s15, 0
	s_add_u32 s18, s12, 8
	s_addc_u32 s19, s13, 0
	s_waitcnt lgkmcnt(0)
	s_add_u32 s20, s2, 8
	v_mov_b64_e32 v[4:5], 0
	s_addc_u32 s21, s3, 0
	s_mov_b64 s[22:23], 1
	v_mov_b64_e32 v[64:65], v[4:5]
.LBB0_2:                                ; =>This Inner Loop Header: Depth=1
	s_load_dwordx2 s[24:25], s[20:21], 0x0
                                        ; implicit-def: $vgpr68_vgpr69
	s_waitcnt lgkmcnt(0)
	v_or_b32_e32 v3, s25, v7
	v_cmp_ne_u64_e32 vcc, 0, v[2:3]
	s_and_saveexec_b64 s[2:3], vcc
	s_xor_b64 s[26:27], exec, s[2:3]
	s_cbranch_execz .LBB0_4
; %bb.3:                                ;   in Loop: Header=BB0_2 Depth=1
	v_cvt_f32_u32_e32 v1, s24
	v_cvt_f32_u32_e32 v3, s25
	s_sub_u32 s2, 0, s24
	s_subb_u32 s3, 0, s25
	v_fmac_f32_e32 v1, 0x4f800000, v3
	v_rcp_f32_e32 v1, v1
	s_nop 0
	v_mul_f32_e32 v1, 0x5f7ffffc, v1
	v_mul_f32_e32 v3, 0x2f800000, v1
	v_trunc_f32_e32 v3, v3
	v_fmac_f32_e32 v1, 0xcf800000, v3
	v_cvt_u32_f32_e32 v3, v3
	v_cvt_u32_f32_e32 v1, v1
	v_mul_lo_u32 v8, s2, v3
	v_mul_hi_u32 v10, s2, v1
	v_mul_lo_u32 v9, s3, v1
	v_add_u32_e32 v10, v10, v8
	v_mul_lo_u32 v12, s2, v1
	v_add_u32_e32 v13, v10, v9
	v_mul_hi_u32 v8, v1, v12
	v_mul_hi_u32 v11, v1, v13
	v_mul_lo_u32 v10, v1, v13
	v_mov_b32_e32 v9, v2
	v_lshl_add_u64 v[8:9], v[8:9], 0, v[10:11]
	v_mul_hi_u32 v11, v3, v12
	v_mul_lo_u32 v12, v3, v12
	v_add_co_u32_e32 v8, vcc, v8, v12
	v_mul_hi_u32 v10, v3, v13
	s_nop 0
	v_addc_co_u32_e32 v8, vcc, v9, v11, vcc
	v_mov_b32_e32 v9, v2
	s_nop 0
	v_addc_co_u32_e32 v11, vcc, 0, v10, vcc
	v_mul_lo_u32 v10, v3, v13
	v_lshl_add_u64 v[8:9], v[8:9], 0, v[10:11]
	v_add_co_u32_e32 v1, vcc, v1, v8
	v_mul_lo_u32 v10, s2, v1
	s_nop 0
	v_addc_co_u32_e32 v3, vcc, v3, v9, vcc
	v_mul_lo_u32 v8, s2, v3
	v_mul_hi_u32 v9, s2, v1
	v_add_u32_e32 v8, v9, v8
	v_mul_lo_u32 v9, s3, v1
	v_add_u32_e32 v12, v8, v9
	v_mul_hi_u32 v14, v3, v10
	v_mul_lo_u32 v15, v3, v10
	v_mul_hi_u32 v9, v1, v12
	v_mul_lo_u32 v8, v1, v12
	v_mul_hi_u32 v10, v1, v10
	v_mov_b32_e32 v11, v2
	v_lshl_add_u64 v[8:9], v[10:11], 0, v[8:9]
	v_add_co_u32_e32 v8, vcc, v8, v15
	v_mul_hi_u32 v13, v3, v12
	s_nop 0
	v_addc_co_u32_e32 v8, vcc, v9, v14, vcc
	v_mul_lo_u32 v10, v3, v12
	s_nop 0
	v_addc_co_u32_e32 v11, vcc, 0, v13, vcc
	v_mov_b32_e32 v9, v2
	v_lshl_add_u64 v[8:9], v[8:9], 0, v[10:11]
	v_add_co_u32_e32 v1, vcc, v1, v8
	v_mul_hi_u32 v10, v6, v1
	s_nop 0
	v_addc_co_u32_e32 v3, vcc, v3, v9, vcc
	v_mad_u64_u32 v[8:9], s[2:3], v6, v3, 0
	v_mov_b32_e32 v11, v2
	v_lshl_add_u64 v[8:9], v[10:11], 0, v[8:9]
	v_mad_u64_u32 v[12:13], s[2:3], v7, v1, 0
	v_add_co_u32_e32 v1, vcc, v8, v12
	v_mad_u64_u32 v[10:11], s[2:3], v7, v3, 0
	s_nop 0
	v_addc_co_u32_e32 v8, vcc, v9, v13, vcc
	v_mov_b32_e32 v9, v2
	s_nop 0
	v_addc_co_u32_e32 v11, vcc, 0, v11, vcc
	v_lshl_add_u64 v[8:9], v[8:9], 0, v[10:11]
	v_mul_lo_u32 v1, s25, v8
	v_mul_lo_u32 v3, s24, v9
	v_mad_u64_u32 v[10:11], s[2:3], s24, v8, 0
	v_add3_u32 v1, v11, v3, v1
	v_sub_u32_e32 v3, v7, v1
	v_mov_b32_e32 v11, s25
	v_sub_co_u32_e32 v14, vcc, v6, v10
	v_lshl_add_u64 v[12:13], v[8:9], 0, 1
	s_nop 0
	v_subb_co_u32_e64 v3, s[2:3], v3, v11, vcc
	v_subrev_co_u32_e64 v10, s[2:3], s24, v14
	v_subb_co_u32_e32 v1, vcc, v7, v1, vcc
	s_nop 0
	v_subbrev_co_u32_e64 v3, s[2:3], 0, v3, s[2:3]
	v_cmp_le_u32_e64 s[2:3], s25, v3
	v_cmp_le_u32_e32 vcc, s25, v1
	s_nop 0
	v_cndmask_b32_e64 v11, 0, -1, s[2:3]
	v_cmp_le_u32_e64 s[2:3], s24, v10
	s_nop 1
	v_cndmask_b32_e64 v10, 0, -1, s[2:3]
	v_cmp_eq_u32_e64 s[2:3], s25, v3
	s_nop 1
	v_cndmask_b32_e64 v3, v11, v10, s[2:3]
	v_lshl_add_u64 v[10:11], v[8:9], 0, 2
	v_cmp_ne_u32_e64 s[2:3], 0, v3
	s_nop 1
	v_cndmask_b32_e64 v3, v13, v11, s[2:3]
	v_cndmask_b32_e64 v11, 0, -1, vcc
	v_cmp_le_u32_e32 vcc, s24, v14
	s_nop 1
	v_cndmask_b32_e64 v13, 0, -1, vcc
	v_cmp_eq_u32_e32 vcc, s25, v1
	s_nop 1
	v_cndmask_b32_e32 v1, v11, v13, vcc
	v_cmp_ne_u32_e32 vcc, 0, v1
	v_cndmask_b32_e64 v1, v12, v10, s[2:3]
	s_nop 0
	v_cndmask_b32_e32 v69, v9, v3, vcc
	v_cndmask_b32_e32 v68, v8, v1, vcc
.LBB0_4:                                ;   in Loop: Header=BB0_2 Depth=1
	s_andn2_saveexec_b64 s[2:3], s[26:27]
	s_cbranch_execz .LBB0_6
; %bb.5:                                ;   in Loop: Header=BB0_2 Depth=1
	v_cvt_f32_u32_e32 v1, s24
	s_sub_i32 s26, 0, s24
	v_mov_b32_e32 v69, v2
	v_rcp_iflag_f32_e32 v1, v1
	s_nop 0
	v_mul_f32_e32 v1, 0x4f7ffffe, v1
	v_cvt_u32_f32_e32 v1, v1
	v_mul_lo_u32 v3, s26, v1
	v_mul_hi_u32 v3, v1, v3
	v_add_u32_e32 v1, v1, v3
	v_mul_hi_u32 v1, v6, v1
	v_mul_lo_u32 v3, v1, s24
	v_sub_u32_e32 v3, v6, v3
	v_add_u32_e32 v8, 1, v1
	v_subrev_u32_e32 v9, s24, v3
	v_cmp_le_u32_e32 vcc, s24, v3
	s_nop 1
	v_cndmask_b32_e32 v3, v3, v9, vcc
	v_cndmask_b32_e32 v1, v1, v8, vcc
	v_add_u32_e32 v8, 1, v1
	v_cmp_le_u32_e32 vcc, s24, v3
	s_nop 1
	v_cndmask_b32_e32 v68, v1, v8, vcc
.LBB0_6:                                ;   in Loop: Header=BB0_2 Depth=1
	s_or_b64 exec, exec, s[2:3]
	v_mad_u64_u32 v[8:9], s[2:3], v68, s24, 0
	s_load_dwordx2 s[2:3], s[18:19], 0x0
	v_mul_lo_u32 v1, v69, s24
	v_mul_lo_u32 v3, v68, s25
	s_load_dwordx2 s[24:25], s[16:17], 0x0
	s_add_u32 s22, s22, 1
	v_add3_u32 v1, v9, v3, v1
	v_sub_co_u32_e32 v3, vcc, v6, v8
	s_addc_u32 s23, s23, 0
	s_nop 0
	v_subb_co_u32_e32 v1, vcc, v7, v1, vcc
	s_add_u32 s16, s16, 8
	s_waitcnt lgkmcnt(0)
	v_mul_lo_u32 v6, s2, v1
	v_mul_lo_u32 v7, s3, v3
	v_mad_u64_u32 v[4:5], s[2:3], s2, v3, v[4:5]
	s_addc_u32 s17, s17, 0
	v_add3_u32 v5, v7, v5, v6
	v_mul_lo_u32 v1, s24, v1
	v_mul_lo_u32 v6, s25, v3
	v_mad_u64_u32 v[64:65], s[2:3], s24, v3, v[64:65]
	s_add_u32 s18, s18, 8
	v_add3_u32 v65, v6, v65, v1
	s_addc_u32 s19, s19, 0
	v_mov_b64_e32 v[6:7], s[10:11]
	s_add_u32 s20, s20, 8
	v_cmp_ge_u64_e32 vcc, s[22:23], v[6:7]
	s_addc_u32 s21, s21, 0
	s_cbranch_vccnz .LBB0_9
; %bb.7:                                ;   in Loop: Header=BB0_2 Depth=1
	v_mov_b64_e32 v[6:7], v[68:69]
	s_branch .LBB0_2
.LBB0_8:
	v_mov_b64_e32 v[64:65], v[4:5]
	v_mov_b64_e32 v[68:69], v[6:7]
.LBB0_9:
	s_load_dwordx2 s[0:1], s[0:1], 0x28
	s_mov_b32 s2, 0x295fad5
	v_mul_hi_u32 v1, v0, s2
	v_mul_u32_u24_e32 v1, 0x63, v1
	s_lshl_b64 s[16:17], s[10:11], 3
	v_sub_u32_e32 v66, v0, v1
	s_add_u32 s10, s14, s16
	s_waitcnt lgkmcnt(0)
	v_cmp_gt_u64_e64 s[0:1], s[0:1], v[68:69]
	v_cmp_gt_u32_e64 s[2:3], 54, v66
	s_addc_u32 s11, s15, s17
	s_and_b64 s[18:19], s[0:1], s[2:3]
                                        ; implicit-def: $vgpr42_vgpr43
                                        ; implicit-def: $vgpr38_vgpr39
                                        ; implicit-def: $vgpr34_vgpr35
                                        ; implicit-def: $vgpr30_vgpr31
                                        ; implicit-def: $vgpr26_vgpr27
                                        ; implicit-def: $vgpr18_vgpr19
                                        ; implicit-def: $vgpr22_vgpr23
                                        ; implicit-def: $vgpr10_vgpr11
                                        ; implicit-def: $vgpr6_vgpr7
                                        ; implicit-def: $vgpr14_vgpr15
                                        ; implicit-def: $vgpr2_vgpr3
	s_and_saveexec_b64 s[14:15], s[18:19]
	s_cbranch_execz .LBB0_11
; %bb.10:
	s_add_u32 s12, s12, s16
	s_addc_u32 s13, s13, s17
	s_load_dwordx2 s[12:13], s[12:13], 0x0
	v_mov_b32_e32 v67, 0
	s_waitcnt lgkmcnt(0)
	v_mul_lo_u32 v2, s13, v68
	v_mul_lo_u32 v3, s12, v69
	v_mad_u64_u32 v[0:1], s[12:13], s12, v68, 0
	v_add3_u32 v1, v1, v3, v2
	v_lshl_add_u64 v[0:1], v[0:1], 4, s[4:5]
	v_lshl_add_u64 v[0:1], v[4:5], 4, v[0:1]
	;; [unrolled: 1-line block ×3, first 2 shown]
	s_movk_i32 s4, 0x1000
	v_add_co_u32_e32 v42, vcc, s4, v40
	global_load_dwordx4 v[0:3], v[40:41], off
	global_load_dwordx4 v[12:15], v[40:41], off offset:864
	global_load_dwordx4 v[4:7], v[40:41], off offset:1728
	;; [unrolled: 1-line block ×3, first 2 shown]
	v_addc_co_u32_e32 v43, vcc, 0, v41, vcc
	global_load_dwordx4 v[20:23], v[40:41], off offset:3456
	global_load_dwordx4 v[16:19], v[42:43], off offset:224
	;; [unrolled: 1-line block ×6, first 2 shown]
	v_add_co_u32_e32 v40, vcc, 0x2000, v40
	s_nop 1
	v_addc_co_u32_e32 v41, vcc, 0, v41, vcc
	global_load_dwordx4 v[40:43], v[40:41], off offset:448
.LBB0_11:
	s_or_b64 exec, exec, s[14:15]
	s_and_saveexec_b64 s[4:5], s[2:3]
	s_cbranch_execz .LBB0_13
; %bb.12:
	s_mov_b32 s18, 0xfd768dbf
	s_mov_b32 s26, 0xf8bb580b
	s_waitcnt vmcnt(0)
	v_add_f64 v[92:93], v[12:13], -v[40:41]
	s_mov_b32 s19, 0xbfd207e7
	s_mov_b32 s2, 0x9bcd5057
	v_add_f64 v[88:89], v[4:5], -v[36:37]
	s_mov_b32 s27, 0x3fe14ced
	s_mov_b32 s16, 0x8764f0ba
	v_add_f64 v[76:77], v[42:43], v[14:15]
	v_mul_f64 v[50:51], v[92:93], s[18:19]
	s_mov_b32 s3, 0xbfeeb42a
	s_mov_b32 s22, 0xbb3a28a1
	v_add_f64 v[70:71], v[38:39], v[6:7]
	v_mul_f64 v[48:49], v[88:89], s[26:27]
	s_mov_b32 s17, 0x3feaeb8c
	v_fma_f64 v[44:45], v[76:77], s[2:3], -v[50:51]
	s_mov_b32 s23, 0xbfe82f19
	s_mov_b32 s12, 0x7f775887
	v_add_f64 v[94:95], v[8:9], -v[32:33]
	v_add_f64 v[44:45], v[2:3], v[44:45]
	v_fma_f64 v[46:47], v[70:71], s[16:17], -v[48:49]
	s_mov_b32 s13, 0xbfe4f49e
	v_add_f64 v[72:73], v[34:35], v[10:11]
	v_mul_f64 v[52:53], v[94:95], s[22:23]
	s_mov_b32 s25, 0x3fed1bb4
	s_mov_b32 s24, 0x8eee2c13
	;; [unrolled: 1-line block ×3, first 2 shown]
	v_add_f64 v[96:97], v[20:21], -v[28:29]
	v_add_f64 v[44:45], v[46:47], v[44:45]
	v_fma_f64 v[46:47], v[72:73], s[12:13], -v[52:53]
	s_mov_b32 s15, 0x3fda9628
	v_add_f64 v[74:75], v[30:31], v[22:23]
	v_mul_f64 v[54:55], v[96:97], s[24:25]
	v_add_f64 v[98:99], v[14:15], -v[42:43]
	v_add_f64 v[44:45], v[46:47], v[44:45]
	v_fma_f64 v[46:47], v[74:75], s[14:15], -v[54:55]
	v_add_f64 v[90:91], v[40:41], v[12:13]
	v_mul_f64 v[56:57], v[98:99], s[18:19]
	v_add_f64 v[104:105], v[6:7], -v[38:39]
	v_add_f64 v[44:45], v[46:47], v[44:45]
	v_fma_f64 v[46:47], s[2:3], v[90:91], v[56:57]
	v_add_f64 v[78:79], v[36:37], v[4:5]
	v_mul_f64 v[58:59], v[104:105], s[26:27]
	v_fmac_f64_e32 v[50:51], s[2:3], v[76:77]
	v_add_f64 v[46:47], v[0:1], v[46:47]
	v_fma_f64 v[60:61], s[16:17], v[78:79], v[58:59]
	v_add_f64 v[100:101], v[10:11], -v[34:35]
	v_fmac_f64_e32 v[48:49], s[16:17], v[70:71]
	v_add_f64 v[50:51], v[2:3], v[50:51]
	v_add_f64 v[46:47], v[60:61], v[46:47]
	;; [unrolled: 1-line block ×3, first 2 shown]
	v_mul_f64 v[60:61], v[100:101], s[22:23]
	v_add_f64 v[48:49], v[48:49], v[50:51]
	v_fmac_f64_e32 v[52:53], s[12:13], v[72:73]
	v_fma_f64 v[62:63], s[12:13], v[80:81], v[60:61]
	v_add_f64 v[102:103], v[22:23], -v[30:31]
	s_mov_b32 s28, 0x43842ef
	v_add_f64 v[48:49], v[52:53], v[48:49]
	v_fma_f64 v[52:53], v[90:91], s[2:3], -v[56:57]
	v_add_f64 v[46:47], v[62:63], v[46:47]
	v_add_f64 v[82:83], v[28:29], v[20:21]
	v_mul_f64 v[62:63], v[102:103], s[24:25]
	s_mov_b32 s29, 0xbfefac9e
	s_mov_b32 s20, 0x640f44db
	v_add_f64 v[106:107], v[16:17], -v[24:25]
	v_fma_f64 v[50:51], v[78:79], s[16:17], -v[58:59]
	v_add_f64 v[52:53], v[0:1], v[52:53]
	v_fma_f64 v[84:85], s[14:15], v[82:83], v[62:63]
	s_mov_b32 s21, 0xbfc2375f
	v_add_f64 v[86:87], v[26:27], v[18:19]
	v_mul_f64 v[112:113], v[106:107], s[28:29]
	v_add_f64 v[108:109], v[18:19], -v[26:27]
	v_fmac_f64_e32 v[54:55], s[14:15], v[74:75]
	v_add_f64 v[50:51], v[50:51], v[52:53]
	v_fma_f64 v[52:53], v[80:81], s[12:13], -v[60:61]
	v_add_f64 v[110:111], v[84:85], v[46:47]
	v_fma_f64 v[46:47], v[86:87], s[20:21], -v[112:113]
	v_add_f64 v[84:85], v[24:25], v[16:17]
	v_mul_f64 v[114:115], v[108:109], s[28:29]
	v_add_f64 v[48:49], v[54:55], v[48:49]
	v_add_f64 v[50:51], v[52:53], v[50:51]
	v_fma_f64 v[52:53], v[82:83], s[14:15], -v[62:63]
	v_fmac_f64_e32 v[112:113], s[20:21], v[86:87]
	v_add_f64 v[52:53], v[52:53], v[50:51]
	v_add_f64 v[50:51], v[112:113], v[48:49]
	v_fma_f64 v[48:49], v[84:85], s[20:21], -v[114:115]
	s_mov_b32 s35, 0x3fefac9e
	s_mov_b32 s34, s28
	v_mul_f64 v[56:57], v[92:93], s[22:23]
	v_add_f64 v[48:49], v[48:49], v[52:53]
	v_fma_f64 v[52:53], v[76:77], s[12:13], -v[56:57]
	v_mul_f64 v[58:59], v[88:89], s[34:35]
	s_mov_b32 s31, 0xbfe14ced
	s_mov_b32 s30, s26
	v_add_f64 v[52:53], v[2:3], v[52:53]
	v_fma_f64 v[54:55], v[70:71], s[20:21], -v[58:59]
	v_mul_f64 v[60:61], v[94:95], s[30:31]
	v_add_f64 v[46:47], v[46:47], v[44:45]
	v_fma_f64 v[44:45], s[20:21], v[84:85], v[114:115]
	v_add_f64 v[52:53], v[54:55], v[52:53]
	v_fma_f64 v[54:55], v[72:73], s[16:17], -v[60:61]
	v_mul_f64 v[62:63], v[96:97], s[18:19]
	v_add_f64 v[44:45], v[44:45], v[110:111]
	v_add_f64 v[52:53], v[54:55], v[52:53]
	v_fma_f64 v[54:55], v[74:75], s[2:3], -v[62:63]
	v_mul_f64 v[110:111], v[98:99], s[22:23]
	v_add_f64 v[52:53], v[54:55], v[52:53]
	v_fma_f64 v[54:55], s[12:13], v[90:91], v[110:111]
	v_mul_f64 v[112:113], v[104:105], s[34:35]
	v_fmac_f64_e32 v[56:57], s[12:13], v[76:77]
	v_add_f64 v[54:55], v[0:1], v[54:55]
	v_fma_f64 v[114:115], s[20:21], v[78:79], v[112:113]
	v_fmac_f64_e32 v[58:59], s[20:21], v[70:71]
	v_add_f64 v[56:57], v[2:3], v[56:57]
	v_add_f64 v[54:55], v[114:115], v[54:55]
	v_mul_f64 v[114:115], v[100:101], s[30:31]
	v_add_f64 v[56:57], v[58:59], v[56:57]
	v_fmac_f64_e32 v[60:61], s[16:17], v[72:73]
	v_fma_f64 v[116:117], s[16:17], v[80:81], v[114:115]
	v_add_f64 v[56:57], v[60:61], v[56:57]
	v_fma_f64 v[60:61], v[90:91], s[12:13], -v[110:111]
	v_add_f64 v[54:55], v[116:117], v[54:55]
	v_mul_f64 v[116:117], v[102:103], s[18:19]
	v_fma_f64 v[58:59], v[78:79], s[20:21], -v[112:113]
	v_add_f64 v[60:61], v[0:1], v[60:61]
	v_fma_f64 v[118:119], s[2:3], v[82:83], v[116:117]
	v_mul_f64 v[120:121], v[106:107], s[24:25]
	v_fmac_f64_e32 v[62:63], s[2:3], v[74:75]
	v_add_f64 v[58:59], v[58:59], v[60:61]
	v_fma_f64 v[60:61], v[80:81], s[16:17], -v[114:115]
	v_add_f64 v[118:119], v[118:119], v[54:55]
	v_fma_f64 v[54:55], v[86:87], s[14:15], -v[120:121]
	v_mul_f64 v[122:123], v[108:109], s[24:25]
	v_add_f64 v[56:57], v[62:63], v[56:57]
	v_add_f64 v[58:59], v[60:61], v[58:59]
	v_fma_f64 v[60:61], v[82:83], s[2:3], -v[116:117]
	v_fmac_f64_e32 v[120:121], s[14:15], v[86:87]
	v_add_f64 v[60:61], v[60:61], v[58:59]
	v_add_f64 v[58:59], v[120:121], v[56:57]
	v_fma_f64 v[56:57], v[84:85], s[14:15], -v[122:123]
	s_mov_b32 s37, 0x3fd207e7
	s_mov_b32 s36, s18
	v_mul_f64 v[110:111], v[92:93], s[28:29]
	v_add_f64 v[56:57], v[56:57], v[60:61]
	v_fma_f64 v[60:61], v[76:77], s[20:21], -v[110:111]
	v_mul_f64 v[112:113], v[88:89], s[36:37]
	v_add_f64 v[60:61], v[2:3], v[60:61]
	v_fma_f64 v[62:63], v[70:71], s[2:3], -v[112:113]
	v_mul_f64 v[114:115], v[94:95], s[24:25]
	v_add_f64 v[54:55], v[54:55], v[52:53]
	v_fma_f64 v[52:53], s[14:15], v[84:85], v[122:123]
	v_add_f64 v[60:61], v[62:63], v[60:61]
	v_fma_f64 v[62:63], v[72:73], s[14:15], -v[114:115]
	v_mul_f64 v[116:117], v[96:97], s[30:31]
	v_add_f64 v[52:53], v[52:53], v[118:119]
	v_add_f64 v[60:61], v[62:63], v[60:61]
	v_fma_f64 v[62:63], v[74:75], s[16:17], -v[116:117]
	v_mul_f64 v[118:119], v[98:99], s[28:29]
	v_add_f64 v[60:61], v[62:63], v[60:61]
	v_fma_f64 v[62:63], s[20:21], v[90:91], v[118:119]
	v_mul_f64 v[120:121], v[104:105], s[36:37]
	v_fmac_f64_e32 v[110:111], s[20:21], v[76:77]
	v_add_f64 v[62:63], v[0:1], v[62:63]
	v_fma_f64 v[122:123], s[2:3], v[78:79], v[120:121]
	v_fmac_f64_e32 v[112:113], s[2:3], v[70:71]
	v_add_f64 v[110:111], v[2:3], v[110:111]
	v_add_f64 v[62:63], v[122:123], v[62:63]
	v_mul_f64 v[122:123], v[100:101], s[24:25]
	v_add_f64 v[110:111], v[112:113], v[110:111]
	v_fmac_f64_e32 v[114:115], s[14:15], v[72:73]
	v_fma_f64 v[124:125], s[14:15], v[80:81], v[122:123]
	v_add_f64 v[110:111], v[114:115], v[110:111]
	v_fma_f64 v[114:115], v[90:91], s[20:21], -v[118:119]
	v_add_f64 v[62:63], v[124:125], v[62:63]
	v_mul_f64 v[124:125], v[102:103], s[30:31]
	v_fma_f64 v[112:113], v[78:79], s[2:3], -v[120:121]
	v_add_f64 v[114:115], v[0:1], v[114:115]
	v_fma_f64 v[126:127], s[16:17], v[82:83], v[124:125]
	v_mul_f64 v[128:129], v[106:107], s[22:23]
	v_fmac_f64_e32 v[116:117], s[16:17], v[74:75]
	v_add_f64 v[112:113], v[112:113], v[114:115]
	v_fma_f64 v[114:115], v[80:81], s[14:15], -v[122:123]
	v_add_f64 v[126:127], v[126:127], v[62:63]
	v_fma_f64 v[62:63], v[86:87], s[12:13], -v[128:129]
	v_mul_f64 v[130:131], v[108:109], s[22:23]
	v_add_f64 v[110:111], v[116:117], v[110:111]
	v_add_f64 v[112:113], v[114:115], v[112:113]
	v_fma_f64 v[114:115], v[82:83], s[16:17], -v[124:125]
	v_fmac_f64_e32 v[128:129], s[12:13], v[86:87]
	s_mov_b32 s25, 0xbfed1bb4
	v_add_f64 v[114:115], v[114:115], v[112:113]
	v_add_f64 v[112:113], v[128:129], v[110:111]
	v_fma_f64 v[110:111], v[84:85], s[12:13], -v[130:131]
	v_mul_f64 v[118:119], v[92:93], s[24:25]
	v_add_f64 v[110:111], v[110:111], v[114:115]
	v_fma_f64 v[114:115], v[76:77], s[14:15], -v[118:119]
	v_mul_f64 v[120:121], v[88:89], s[22:23]
	;; [unrolled: 3-line block ×3, first 2 shown]
	v_add_f64 v[62:63], v[62:63], v[60:61]
	v_fma_f64 v[60:61], s[12:13], v[84:85], v[130:131]
	v_add_f64 v[114:115], v[116:117], v[114:115]
	v_fma_f64 v[116:117], v[72:73], s[2:3], -v[122:123]
	v_mul_f64 v[124:125], v[96:97], s[34:35]
	v_add_f64 v[60:61], v[60:61], v[126:127]
	v_add_f64 v[114:115], v[116:117], v[114:115]
	v_fma_f64 v[116:117], v[74:75], s[20:21], -v[124:125]
	v_mul_f64 v[126:127], v[98:99], s[24:25]
	v_add_f64 v[114:115], v[116:117], v[114:115]
	v_fma_f64 v[116:117], s[14:15], v[90:91], v[126:127]
	v_mul_f64 v[128:129], v[104:105], s[22:23]
	v_fmac_f64_e32 v[118:119], s[14:15], v[76:77]
	v_add_f64 v[116:117], v[0:1], v[116:117]
	v_fma_f64 v[130:131], s[12:13], v[78:79], v[128:129]
	v_fmac_f64_e32 v[120:121], s[12:13], v[70:71]
	v_add_f64 v[118:119], v[2:3], v[118:119]
	v_add_f64 v[116:117], v[130:131], v[116:117]
	v_mul_f64 v[130:131], v[100:101], s[36:37]
	v_add_f64 v[118:119], v[120:121], v[118:119]
	v_fmac_f64_e32 v[122:123], s[2:3], v[72:73]
	v_fma_f64 v[132:133], s[2:3], v[80:81], v[130:131]
	v_add_f64 v[118:119], v[122:123], v[118:119]
	v_fma_f64 v[122:123], v[90:91], s[14:15], -v[126:127]
	v_add_f64 v[116:117], v[132:133], v[116:117]
	v_mul_f64 v[132:133], v[102:103], s[34:35]
	v_fma_f64 v[120:121], v[78:79], s[12:13], -v[128:129]
	v_add_f64 v[122:123], v[0:1], v[122:123]
	v_fma_f64 v[134:135], s[20:21], v[82:83], v[132:133]
	v_mul_f64 v[136:137], v[106:107], s[26:27]
	v_fmac_f64_e32 v[124:125], s[20:21], v[74:75]
	v_add_f64 v[120:121], v[120:121], v[122:123]
	v_fma_f64 v[122:123], v[80:81], s[2:3], -v[130:131]
	v_add_f64 v[134:135], v[134:135], v[116:117]
	v_fma_f64 v[116:117], v[86:87], s[16:17], -v[136:137]
	v_mul_f64 v[138:139], v[108:109], s[26:27]
	v_add_f64 v[118:119], v[124:125], v[118:119]
	v_add_f64 v[120:121], v[122:123], v[120:121]
	v_fma_f64 v[122:123], v[82:83], s[20:21], -v[132:133]
	v_fmac_f64_e32 v[136:137], s[16:17], v[86:87]
	v_add_f64 v[122:123], v[122:123], v[120:121]
	v_add_f64 v[120:121], v[136:137], v[118:119]
	v_fma_f64 v[118:119], v[84:85], s[16:17], -v[138:139]
	v_add_f64 v[118:119], v[118:119], v[122:123]
	v_mul_f64 v[122:123], v[92:93], s[30:31]
	v_mul_f64 v[88:89], v[88:89], s[24:25]
	v_fma_f64 v[92:93], v[76:77], s[16:17], -v[122:123]
	v_add_f64 v[92:93], v[2:3], v[92:93]
	v_fma_f64 v[124:125], v[70:71], s[14:15], -v[88:89]
	v_add_f64 v[92:93], v[124:125], v[92:93]
	v_mul_f64 v[124:125], v[94:95], s[28:29]
	v_add_f64 v[14:15], v[14:15], v[2:3]
	v_add_f64 v[12:13], v[12:13], v[0:1]
	v_fma_f64 v[94:95], v[72:73], s[20:21], -v[124:125]
	v_mul_f64 v[96:97], v[96:97], s[22:23]
	v_add_f64 v[6:7], v[6:7], v[14:15]
	v_add_f64 v[4:5], v[4:5], v[12:13]
	;; [unrolled: 1-line block ×3, first 2 shown]
	v_fma_f64 v[94:95], v[74:75], s[12:13], -v[96:97]
	v_mul_f64 v[98:99], v[98:99], s[30:31]
	v_add_f64 v[6:7], v[10:11], v[6:7]
	v_add_f64 v[4:5], v[8:9], v[4:5]
	;; [unrolled: 1-line block ×3, first 2 shown]
	v_mul_f64 v[104:105], v[104:105], s[24:25]
	v_fma_f64 v[94:95], s[16:17], v[90:91], v[98:99]
	v_add_f64 v[6:7], v[22:23], v[6:7]
	v_add_f64 v[4:5], v[20:21], v[4:5]
	v_add_f64 v[94:95], v[0:1], v[94:95]
	v_fma_f64 v[126:127], s[14:15], v[78:79], v[104:105]
	v_mul_f64 v[100:101], v[100:101], s[28:29]
	v_add_f64 v[6:7], v[18:19], v[6:7]
	v_add_f64 v[4:5], v[16:17], v[4:5]
	v_add_f64 v[94:95], v[126:127], v[94:95]
	v_fma_f64 v[126:127], s[20:21], v[80:81], v[100:101]
	v_mul_f64 v[102:103], v[102:103], s[22:23]
	v_fmac_f64_e32 v[122:123], s[16:17], v[76:77]
	v_fma_f64 v[76:77], v[90:91], s[16:17], -v[98:99]
	v_add_f64 v[6:7], v[26:27], v[6:7]
	v_add_f64 v[4:5], v[24:25], v[4:5]
	;; [unrolled: 1-line block ×3, first 2 shown]
	v_fma_f64 v[126:127], s[12:13], v[82:83], v[102:103]
	v_mul_f64 v[106:107], v[106:107], s[18:19]
	v_add_f64 v[2:3], v[2:3], v[122:123]
	v_add_f64 v[0:1], v[0:1], v[76:77]
	v_fmac_f64_e32 v[88:89], s[14:15], v[70:71]
	v_fma_f64 v[76:77], v[78:79], s[14:15], -v[104:105]
	v_add_f64 v[6:7], v[30:31], v[6:7]
	v_add_f64 v[4:5], v[28:29], v[4:5]
	;; [unrolled: 1-line block ×3, first 2 shown]
	v_fma_f64 v[94:95], v[86:87], s[2:3], -v[106:107]
	v_mul_f64 v[108:109], v[108:109], s[18:19]
	v_fmac_f64_e32 v[96:97], s[12:13], v[74:75]
	v_fmac_f64_e32 v[124:125], s[20:21], v[72:73]
	v_add_f64 v[2:3], v[88:89], v[2:3]
	v_fma_f64 v[74:75], v[80:81], s[20:21], -v[100:101]
	v_add_f64 v[0:1], v[76:77], v[0:1]
	v_add_f64 v[6:7], v[34:35], v[6:7]
	;; [unrolled: 1-line block ×4, first 2 shown]
	v_fma_f64 v[92:93], s[2:3], v[84:85], v[108:109]
	v_fmac_f64_e32 v[106:107], s[2:3], v[86:87]
	v_add_f64 v[2:3], v[124:125], v[2:3]
	v_fma_f64 v[70:71], v[84:85], s[2:3], -v[108:109]
	v_fma_f64 v[72:73], v[82:83], s[12:13], -v[102:103]
	v_add_f64 v[0:1], v[74:75], v[0:1]
	v_add_f64 v[6:7], v[38:39], v[6:7]
	;; [unrolled: 1-line block ×3, first 2 shown]
	s_movk_i32 s2, 0xb0
	v_add_f64 v[116:117], v[116:117], v[114:115]
	v_fma_f64 v[114:115], s[16:17], v[84:85], v[138:139]
	v_add_f64 v[2:3], v[96:97], v[2:3]
	v_add_f64 v[0:1], v[72:73], v[0:1]
	;; [unrolled: 1-line block ×4, first 2 shown]
	v_mad_u32_u24 v8, v66, s2, 0
	v_add_f64 v[114:115], v[114:115], v[134:135]
	v_add_f64 v[92:93], v[92:93], v[126:127]
	;; [unrolled: 1-line block ×4, first 2 shown]
	ds_write_b128 v8, v[4:7]
	ds_write_b128 v8, v[0:3] offset:16
	ds_write_b128 v8, v[118:121] offset:32
	;; [unrolled: 1-line block ×10, first 2 shown]
.LBB0_13:
	s_or_b64 exec, exec, s[4:5]
	s_movk_i32 s2, 0x75
	s_waitcnt vmcnt(10)
	v_mul_lo_u16_sdwa v1, v66, s2 dst_sel:DWORD dst_unused:UNUSED_PAD src0_sel:BYTE_0 src1_sel:DWORD
	v_sub_u16_sdwa v2, v66, v1 dst_sel:DWORD dst_unused:UNUSED_PAD src0_sel:DWORD src1_sel:BYTE_1
	v_lshrrev_b16_e32 v2, 1, v2
	v_and_b32_e32 v2, 0x7f, v2
	v_add_u16_sdwa v1, v2, v1 dst_sel:DWORD dst_unused:UNUSED_PAD src0_sel:DWORD src1_sel:BYTE_1
	s_waitcnt vmcnt(0)
	v_lshrrev_b16_e32 v42, 3, v1
	v_mul_lo_u16_e32 v1, 11, v42
	v_sub_u16_e32 v43, v66, v1
	v_mov_b32_e32 v50, 5
	v_add_u32_e32 v0, 0x63, v66
	v_lshlrev_b32_sdwa v1, v50, v43 dst_sel:DWORD dst_unused:UNUSED_PAD src0_sel:DWORD src1_sel:BYTE_0
	s_load_dwordx2 s[10:11], s[10:11], 0x0
	s_waitcnt lgkmcnt(0)
	s_barrier
	global_load_dwordx4 v[2:5], v1, s[8:9] offset:16
	global_load_dwordx4 v[6:9], v1, s[8:9]
	v_mul_lo_u16_sdwa v1, v0, s2 dst_sel:DWORD dst_unused:UNUSED_PAD src0_sel:BYTE_0 src1_sel:DWORD
	v_sub_u16_sdwa v10, v0, v1 dst_sel:DWORD dst_unused:UNUSED_PAD src0_sel:DWORD src1_sel:BYTE_1
	v_lshrrev_b16_e32 v10, 1, v10
	v_and_b32_e32 v10, 0x7f, v10
	v_add_u16_sdwa v1, v10, v1 dst_sel:DWORD dst_unused:UNUSED_PAD src0_sel:DWORD src1_sel:BYTE_1
	v_lshrrev_b16_e32 v44, 3, v1
	v_mul_lo_u16_e32 v1, 11, v44
	v_sub_u16_e32 v45, v0, v1
	v_lshlrev_b32_sdwa v1, v50, v45 dst_sel:DWORD dst_unused:UNUSED_PAD src0_sel:DWORD src1_sel:BYTE_0
	global_load_dwordx4 v[10:13], v1, s[8:9]
	global_load_dwordx4 v[14:17], v1, s[8:9] offset:16
	v_lshl_add_u32 v1, v66, 4, 0
	ds_read_b128 v[18:21], v1
	ds_read_b128 v[22:25], v1 offset:1584
	ds_read_b128 v[26:29], v1 offset:3168
	;; [unrolled: 1-line block ×5, first 2 shown]
	v_mov_b32_e32 v56, 4
	v_mul_u32_u24_e32 v42, 0x210, v42
	v_lshlrev_b32_sdwa v43, v56, v43 dst_sel:DWORD dst_unused:UNUSED_PAD src0_sel:DWORD src1_sel:BYTE_0
	v_mul_u32_u24_e32 v51, 0x210, v44
	v_lshlrev_b32_sdwa v52, v56, v45 dst_sel:DWORD dst_unused:UNUSED_PAD src0_sel:DWORD src1_sel:BYTE_0
	v_add3_u32 v53, 0, v42, v43
	s_mov_b32 s2, 0xe8584caa
	s_mov_b32 s3, 0x3febb67a
	s_mov_b32 s5, 0xbfebb67a
	s_mov_b32 s4, s2
	s_waitcnt lgkmcnt(0)
	s_barrier
	s_movk_i32 s12, 0xf9
	s_waitcnt vmcnt(3)
	v_mul_f64 v[44:45], v[36:37], v[4:5]
	s_waitcnt vmcnt(2)
	v_mul_f64 v[42:43], v[28:29], v[8:9]
	v_mul_f64 v[8:9], v[26:27], v[8:9]
	;; [unrolled: 1-line block ×3, first 2 shown]
	v_fma_f64 v[26:27], v[26:27], v[6:7], -v[42:43]
	v_fmac_f64_e32 v[8:9], v[28:29], v[6:7]
	v_fma_f64 v[6:7], v[34:35], v[2:3], -v[44:45]
	v_fmac_f64_e32 v[4:5], v[36:37], v[2:3]
	v_add_f64 v[28:29], v[26:27], v[6:7]
	s_waitcnt vmcnt(1)
	v_mul_f64 v[46:47], v[32:33], v[12:13]
	v_mul_f64 v[12:13], v[30:31], v[12:13]
	s_waitcnt vmcnt(0)
	v_mul_f64 v[48:49], v[40:41], v[16:17]
	v_mul_f64 v[16:17], v[38:39], v[16:17]
	v_fma_f64 v[2:3], v[30:31], v[10:11], -v[46:47]
	v_fmac_f64_e32 v[12:13], v[32:33], v[10:11]
	v_fma_f64 v[10:11], v[38:39], v[14:15], -v[48:49]
	v_fmac_f64_e32 v[16:17], v[40:41], v[14:15]
	v_add_f64 v[14:15], v[18:19], v[26:27]
	v_add_f64 v[30:31], v[8:9], -v[4:5]
	v_add_f64 v[32:33], v[20:21], v[8:9]
	v_add_f64 v[8:9], v[8:9], v[4:5]
	v_add_f64 v[26:27], v[26:27], -v[6:7]
	v_add_f64 v[34:35], v[22:23], v[2:3]
	;; [unrolled: 3-line block ×4, first 2 shown]
	v_fmac_f64_e32 v[18:19], -0.5, v[28:29]
	v_add_f64 v[4:5], v[32:33], v[4:5]
	v_fmac_f64_e32 v[20:21], -0.5, v[8:9]
	v_add_f64 v[6:7], v[34:35], v[10:11]
	;; [unrolled: 2-line block ×3, first 2 shown]
	v_fmac_f64_e32 v[24:25], -0.5, v[12:13]
	v_fma_f64 v[10:11], s[2:3], v[30:31], v[18:19]
	v_fmac_f64_e32 v[18:19], s[4:5], v[30:31]
	v_fma_f64 v[12:13], s[4:5], v[26:27], v[20:21]
	v_fmac_f64_e32 v[20:21], s[2:3], v[26:27]
	ds_write_b128 v53, v[2:5]
	ds_write_b128 v53, v[10:13] offset:176
	ds_write_b128 v53, v[18:21] offset:352
	v_add3_u32 v2, 0, v51, v52
	v_fma_f64 v[14:15], s[2:3], v[38:39], v[22:23]
	v_fmac_f64_e32 v[22:23], s[4:5], v[38:39]
	v_fma_f64 v[16:17], s[4:5], v[42:43], v[24:25]
	v_fmac_f64_e32 v[24:25], s[2:3], v[42:43]
	ds_write_b128 v2, v[6:9]
	ds_write_b128 v2, v[14:17] offset:176
	ds_write_b128 v2, v[22:25] offset:352
	v_mul_lo_u16_sdwa v2, v66, s12 dst_sel:DWORD dst_unused:UNUSED_PAD src0_sel:BYTE_0 src1_sel:DWORD
	v_lshrrev_b16_e32 v57, 13, v2
	v_mul_lo_u16_e32 v2, 33, v57
	v_sub_u16_e32 v58, v66, v2
	v_mul_u32_u24_sdwa v2, v58, v50 dst_sel:DWORD dst_unused:UNUSED_PAD src0_sel:BYTE_0 src1_sel:DWORD
	v_lshlrev_b32_e32 v22, 4, v2
	s_waitcnt lgkmcnt(0)
	s_barrier
	global_load_dwordx4 v[2:5], v22, s[8:9] offset:352
	global_load_dwordx4 v[6:9], v22, s[8:9] offset:368
	;; [unrolled: 1-line block ×5, first 2 shown]
	ds_read_b128 v[22:25], v1
	ds_read_b128 v[26:29], v1 offset:1584
	ds_read_b128 v[30:33], v1 offset:3168
	;; [unrolled: 1-line block ×5, first 2 shown]
	s_waitcnt lgkmcnt(0)
	s_barrier
	s_waitcnt vmcnt(4)
	v_mul_f64 v[48:49], v[26:27], v[4:5]
	v_mul_f64 v[46:47], v[28:29], v[4:5]
	s_waitcnt vmcnt(2)
	v_mul_f64 v[50:51], v[36:37], v[12:13]
	v_mul_f64 v[12:13], v[34:35], v[12:13]
	;; [unrolled: 3-line block ×3, first 2 shown]
	v_mul_f64 v[4:5], v[32:33], v[8:9]
	v_mul_f64 v[8:9], v[30:31], v[8:9]
	;; [unrolled: 1-line block ×4, first 2 shown]
	v_fmac_f64_e32 v[48:49], v[28:29], v[2:3]
	v_fmac_f64_e32 v[12:13], v[36:37], v[10:11]
	;; [unrolled: 1-line block ×3, first 2 shown]
	v_fma_f64 v[26:27], v[26:27], v[2:3], -v[46:47]
	v_fma_f64 v[2:3], v[30:31], v[6:7], -v[4:5]
	v_fmac_f64_e32 v[8:9], v[32:33], v[6:7]
	v_fma_f64 v[4:5], v[34:35], v[10:11], -v[50:51]
	v_fma_f64 v[6:7], v[38:39], v[14:15], -v[52:53]
	v_fmac_f64_e32 v[16:17], v[40:41], v[14:15]
	v_fma_f64 v[10:11], v[42:43], v[18:19], -v[54:55]
	v_add_f64 v[36:37], v[12:13], -v[20:21]
	v_add_f64 v[38:39], v[48:49], v[12:13]
	v_add_f64 v[12:13], v[12:13], v[20:21]
	v_add_f64 v[28:29], v[8:9], -v[16:17]
	v_add_f64 v[30:31], v[24:25], v[8:9]
	v_add_f64 v[8:9], v[8:9], v[16:17]
	;; [unrolled: 1-line block ×4, first 2 shown]
	v_add_f64 v[4:5], v[4:5], -v[10:11]
	v_fmac_f64_e32 v[48:49], -0.5, v[12:13]
	v_add_f64 v[14:15], v[22:23], v[2:3]
	v_fmac_f64_e32 v[24:25], -0.5, v[8:9]
	v_fmac_f64_e32 v[26:27], -0.5, v[34:35]
	v_fma_f64 v[8:9], s[4:5], v[4:5], v[48:49]
	v_fmac_f64_e32 v[48:49], s[2:3], v[4:5]
	v_add_f64 v[18:19], v[2:3], v[6:7]
	v_add_f64 v[2:3], v[2:3], -v[6:7]
	v_add_f64 v[14:15], v[14:15], v[6:7]
	v_add_f64 v[20:21], v[38:39], v[20:21]
	v_fma_f64 v[6:7], s[2:3], v[36:37], v[26:27]
	v_fmac_f64_e32 v[26:27], s[4:5], v[36:37]
	v_mul_f64 v[38:39], v[48:49], -0.5
	v_fmac_f64_e32 v[22:23], -0.5, v[18:19]
	v_add_f64 v[16:17], v[30:31], v[16:17]
	v_add_f64 v[18:19], v[32:33], v[10:11]
	v_mul_f64 v[32:33], v[8:9], s[2:3]
	v_mul_f64 v[34:35], v[26:27], -0.5
	v_mul_f64 v[36:37], v[6:7], s[4:5]
	v_fmac_f64_e32 v[38:39], s[4:5], v[26:27]
	v_mul_u32_u24_e32 v26, 0xc60, v57
	v_lshlrev_b32_sdwa v27, v56, v58 dst_sel:DWORD dst_unused:UNUSED_PAD src0_sel:DWORD src1_sel:BYTE_0
	v_fma_f64 v[30:31], s[2:3], v[28:29], v[22:23]
	v_fmac_f64_e32 v[22:23], s[4:5], v[28:29]
	v_fma_f64 v[28:29], s[4:5], v[2:3], v[24:25]
	v_fmac_f64_e32 v[24:25], s[2:3], v[2:3]
	v_add_f64 v[2:3], v[14:15], v[18:19]
	v_add_f64 v[4:5], v[16:17], v[20:21]
	v_fmac_f64_e32 v[32:33], 0.5, v[6:7]
	v_fmac_f64_e32 v[34:35], s[2:3], v[48:49]
	v_fmac_f64_e32 v[36:37], 0.5, v[8:9]
	v_add3_u32 v26, 0, v26, v27
	v_add_f64 v[6:7], v[30:31], v[32:33]
	v_add_f64 v[10:11], v[22:23], v[34:35]
	;; [unrolled: 1-line block ×4, first 2 shown]
	v_add_f64 v[14:15], v[14:15], -v[18:19]
	v_add_f64 v[18:19], v[30:31], -v[32:33]
	;; [unrolled: 1-line block ×6, first 2 shown]
	ds_write_b128 v26, v[2:5]
	ds_write_b128 v26, v[6:9] offset:528
	ds_write_b128 v26, v[10:13] offset:1056
	;; [unrolled: 1-line block ×5, first 2 shown]
	s_waitcnt lgkmcnt(0)
	s_barrier
	s_and_saveexec_b64 s[12:13], s[0:1]
	s_cbranch_execz .LBB0_15
; %bb.14:
	v_lshlrev_b32_e32 v42, 1, v0
	v_mov_b32_e32 v43, 0
	v_lshl_add_u64 v[10:11], v[42:43], 4, s[8:9]
	v_lshlrev_b32_e32 v42, 1, v66
	global_load_dwordx4 v[2:5], v[10:11], off offset:2992
	global_load_dwordx4 v[6:9], v[10:11], off offset:3008
	v_lshl_add_u64 v[18:19], v[42:43], 4, s[8:9]
	global_load_dwordx4 v[10:13], v[18:19], off offset:2992
	global_load_dwordx4 v[14:17], v[18:19], off offset:3008
	v_mul_lo_u32 v42, s11, v68
	v_mul_lo_u32 v46, s10, v69
	v_mad_u64_u32 v[44:45], s[0:1], s10, v68, 0
	s_mov_b32 s9, 0xa57eb503
	v_add3_u32 v45, v45, v46, v42
	ds_read_b128 v[18:21], v1 offset:4752
	ds_read_b128 v[22:25], v1 offset:3168
	;; [unrolled: 1-line block ×5, first 2 shown]
	ds_read_b128 v[38:41], v1
	v_mul_hi_u32 v42, v0, s9
	v_lshl_add_u64 v[0:1], v[44:45], 4, s[6:7]
	v_mov_b32_e32 v67, v43
	v_lshl_add_u64 v[0:1], v[64:65], 4, v[0:1]
	s_movk_i32 s8, 0x1000
	v_lshrrev_b32_e32 v42, 7, v42
	v_lshl_add_u64 v[44:45], v[66:67], 4, v[0:1]
	v_mul_u32_u24_e32 v42, 0x18c, v42
	v_add_co_u32_e32 v46, vcc, s8, v44
	v_lshl_add_u64 v[42:43], v[42:43], 4, v[44:45]
	s_nop 0
	v_addc_co_u32_e32 v47, vcc, 0, v45, vcc
	v_add_co_u32_e32 v50, vcc, 0x1000, v42
	s_mov_b64 s[0:1], 0x630
	s_nop 0
	v_addc_co_u32_e32 v51, vcc, 0, v43, vcc
	v_lshl_add_u64 v[48:49], v[42:43], 0, s[0:1]
	s_waitcnt vmcnt(3) lgkmcnt(5)
	v_mul_f64 v[0:1], v[4:5], v[20:21]
	s_waitcnt vmcnt(2) lgkmcnt(3)
	v_mul_f64 v[52:53], v[8:9], v[28:29]
	v_mul_f64 v[20:21], v[2:3], v[20:21]
	;; [unrolled: 1-line block ×3, first 2 shown]
	v_fma_f64 v[0:1], v[2:3], v[18:19], -v[0:1]
	v_fma_f64 v[52:53], v[6:7], v[26:27], -v[52:53]
	v_fmac_f64_e32 v[20:21], v[18:19], v[4:5]
	v_fmac_f64_e32 v[28:29], v[26:27], v[8:9]
	s_waitcnt vmcnt(1)
	v_mul_f64 v[2:3], v[12:13], v[24:25]
	s_waitcnt vmcnt(0) lgkmcnt(2)
	v_mul_f64 v[4:5], v[16:17], v[32:33]
	v_mul_f64 v[8:9], v[10:11], v[24:25]
	;; [unrolled: 1-line block ×3, first 2 shown]
	v_add_f64 v[6:7], v[20:21], v[28:29]
	v_add_f64 v[32:33], v[0:1], v[52:53]
	v_fma_f64 v[10:11], v[10:11], v[22:23], -v[2:3]
	v_fma_f64 v[56:57], v[14:15], v[30:31], -v[4:5]
	v_fmac_f64_e32 v[8:9], v[22:23], v[12:13]
	v_fmac_f64_e32 v[18:19], v[30:31], v[16:17]
	v_add_f64 v[24:25], v[0:1], -v[52:53]
	s_waitcnt lgkmcnt(1)
	v_add_f64 v[26:27], v[20:21], v[36:37]
	v_add_f64 v[20:21], v[20:21], -v[28:29]
	v_add_f64 v[54:55], v[0:1], v[34:35]
	v_fma_f64 v[2:3], -0.5, v[6:7], v[36:37]
	v_fma_f64 v[0:1], -0.5, v[32:33], v[34:35]
	v_add_f64 v[12:13], v[8:9], v[18:19]
	s_waitcnt lgkmcnt(0)
	v_add_f64 v[16:17], v[8:9], v[40:41]
	v_add_f64 v[22:23], v[10:11], v[56:57]
	v_add_f64 v[30:31], v[10:11], v[38:39]
	v_add_f64 v[6:7], v[28:29], v[26:27]
	v_add_f64 v[26:27], v[10:11], -v[56:57]
	v_add_f64 v[28:29], v[8:9], -v[18:19]
	v_fma_f64 v[10:11], s[2:3], v[24:25], v[2:3]
	v_fma_f64 v[8:9], s[4:5], v[20:21], v[0:1]
	v_fma_f64 v[14:15], -0.5, v[12:13], v[40:41]
	v_add_f64 v[18:19], v[18:19], v[16:17]
	v_fma_f64 v[12:13], -0.5, v[22:23], v[38:39]
	v_add_f64 v[16:17], v[56:57], v[30:31]
	v_add_f64 v[4:5], v[52:53], v[54:55]
	v_fmac_f64_e32 v[2:3], s[4:5], v[24:25]
	v_fmac_f64_e32 v[0:1], s[2:3], v[20:21]
	v_fma_f64 v[22:23], s[2:3], v[26:27], v[14:15]
	v_fmac_f64_e32 v[14:15], s[4:5], v[26:27]
	v_fma_f64 v[20:21], s[4:5], v[28:29], v[12:13]
	v_fmac_f64_e32 v[12:13], s[2:3], v[28:29]
	global_store_dwordx4 v[44:45], v[16:19], off
	global_store_dwordx4 v[44:45], v[12:15], off offset:3168
	global_store_dwordx4 v[46:47], v[20:23], off offset:2240
	;; [unrolled: 1-line block ×5, first 2 shown]
.LBB0_15:
	s_endpgm
	.section	.rodata,"a",@progbits
	.p2align	6, 0x0
	.amdhsa_kernel fft_rtc_fwd_len594_factors_11_3_6_3_wgs_99_tpt_99_dp_op_CI_CI_unitstride_sbrr_dirReg
		.amdhsa_group_segment_fixed_size 0
		.amdhsa_private_segment_fixed_size 0
		.amdhsa_kernarg_size 104
		.amdhsa_user_sgpr_count 2
		.amdhsa_user_sgpr_dispatch_ptr 0
		.amdhsa_user_sgpr_queue_ptr 0
		.amdhsa_user_sgpr_kernarg_segment_ptr 1
		.amdhsa_user_sgpr_dispatch_id 0
		.amdhsa_user_sgpr_kernarg_preload_length 0
		.amdhsa_user_sgpr_kernarg_preload_offset 0
		.amdhsa_user_sgpr_private_segment_size 0
		.amdhsa_uses_dynamic_stack 0
		.amdhsa_enable_private_segment 0
		.amdhsa_system_sgpr_workgroup_id_x 1
		.amdhsa_system_sgpr_workgroup_id_y 0
		.amdhsa_system_sgpr_workgroup_id_z 0
		.amdhsa_system_sgpr_workgroup_info 0
		.amdhsa_system_vgpr_workitem_id 0
		.amdhsa_next_free_vgpr 140
		.amdhsa_next_free_sgpr 38
		.amdhsa_accum_offset 140
		.amdhsa_reserve_vcc 1
		.amdhsa_float_round_mode_32 0
		.amdhsa_float_round_mode_16_64 0
		.amdhsa_float_denorm_mode_32 3
		.amdhsa_float_denorm_mode_16_64 3
		.amdhsa_dx10_clamp 1
		.amdhsa_ieee_mode 1
		.amdhsa_fp16_overflow 0
		.amdhsa_tg_split 0
		.amdhsa_exception_fp_ieee_invalid_op 0
		.amdhsa_exception_fp_denorm_src 0
		.amdhsa_exception_fp_ieee_div_zero 0
		.amdhsa_exception_fp_ieee_overflow 0
		.amdhsa_exception_fp_ieee_underflow 0
		.amdhsa_exception_fp_ieee_inexact 0
		.amdhsa_exception_int_div_zero 0
	.end_amdhsa_kernel
	.text
.Lfunc_end0:
	.size	fft_rtc_fwd_len594_factors_11_3_6_3_wgs_99_tpt_99_dp_op_CI_CI_unitstride_sbrr_dirReg, .Lfunc_end0-fft_rtc_fwd_len594_factors_11_3_6_3_wgs_99_tpt_99_dp_op_CI_CI_unitstride_sbrr_dirReg
                                        ; -- End function
	.section	.AMDGPU.csdata,"",@progbits
; Kernel info:
; codeLenInByte = 6032
; NumSgprs: 44
; NumVgprs: 140
; NumAgprs: 0
; TotalNumVgprs: 140
; ScratchSize: 0
; MemoryBound: 1
; FloatMode: 240
; IeeeMode: 1
; LDSByteSize: 0 bytes/workgroup (compile time only)
; SGPRBlocks: 5
; VGPRBlocks: 17
; NumSGPRsForWavesPerEU: 44
; NumVGPRsForWavesPerEU: 140
; AccumOffset: 140
; Occupancy: 3
; WaveLimiterHint : 1
; COMPUTE_PGM_RSRC2:SCRATCH_EN: 0
; COMPUTE_PGM_RSRC2:USER_SGPR: 2
; COMPUTE_PGM_RSRC2:TRAP_HANDLER: 0
; COMPUTE_PGM_RSRC2:TGID_X_EN: 1
; COMPUTE_PGM_RSRC2:TGID_Y_EN: 0
; COMPUTE_PGM_RSRC2:TGID_Z_EN: 0
; COMPUTE_PGM_RSRC2:TIDIG_COMP_CNT: 0
; COMPUTE_PGM_RSRC3_GFX90A:ACCUM_OFFSET: 34
; COMPUTE_PGM_RSRC3_GFX90A:TG_SPLIT: 0
	.text
	.p2alignl 6, 3212836864
	.fill 256, 4, 3212836864
	.type	__hip_cuid_77e4d1583f9c92ff,@object ; @__hip_cuid_77e4d1583f9c92ff
	.section	.bss,"aw",@nobits
	.globl	__hip_cuid_77e4d1583f9c92ff
__hip_cuid_77e4d1583f9c92ff:
	.byte	0                               ; 0x0
	.size	__hip_cuid_77e4d1583f9c92ff, 1

	.ident	"AMD clang version 19.0.0git (https://github.com/RadeonOpenCompute/llvm-project roc-6.4.0 25133 c7fe45cf4b819c5991fe208aaa96edf142730f1d)"
	.section	".note.GNU-stack","",@progbits
	.addrsig
	.addrsig_sym __hip_cuid_77e4d1583f9c92ff
	.amdgpu_metadata
---
amdhsa.kernels:
  - .agpr_count:     0
    .args:
      - .actual_access:  read_only
        .address_space:  global
        .offset:         0
        .size:           8
        .value_kind:     global_buffer
      - .offset:         8
        .size:           8
        .value_kind:     by_value
      - .actual_access:  read_only
        .address_space:  global
        .offset:         16
        .size:           8
        .value_kind:     global_buffer
      - .actual_access:  read_only
        .address_space:  global
        .offset:         24
        .size:           8
        .value_kind:     global_buffer
      - .actual_access:  read_only
        .address_space:  global
        .offset:         32
        .size:           8
        .value_kind:     global_buffer
      - .offset:         40
        .size:           8
        .value_kind:     by_value
      - .actual_access:  read_only
        .address_space:  global
        .offset:         48
        .size:           8
        .value_kind:     global_buffer
      - .actual_access:  read_only
        .address_space:  global
        .offset:         56
        .size:           8
        .value_kind:     global_buffer
      - .offset:         64
        .size:           4
        .value_kind:     by_value
      - .actual_access:  read_only
        .address_space:  global
        .offset:         72
        .size:           8
        .value_kind:     global_buffer
      - .actual_access:  read_only
        .address_space:  global
        .offset:         80
        .size:           8
        .value_kind:     global_buffer
      - .actual_access:  read_only
        .address_space:  global
        .offset:         88
        .size:           8
        .value_kind:     global_buffer
      - .actual_access:  write_only
        .address_space:  global
        .offset:         96
        .size:           8
        .value_kind:     global_buffer
    .group_segment_fixed_size: 0
    .kernarg_segment_align: 8
    .kernarg_segment_size: 104
    .language:       OpenCL C
    .language_version:
      - 2
      - 0
    .max_flat_workgroup_size: 99
    .name:           fft_rtc_fwd_len594_factors_11_3_6_3_wgs_99_tpt_99_dp_op_CI_CI_unitstride_sbrr_dirReg
    .private_segment_fixed_size: 0
    .sgpr_count:     44
    .sgpr_spill_count: 0
    .symbol:         fft_rtc_fwd_len594_factors_11_3_6_3_wgs_99_tpt_99_dp_op_CI_CI_unitstride_sbrr_dirReg.kd
    .uniform_work_group_size: 1
    .uses_dynamic_stack: false
    .vgpr_count:     140
    .vgpr_spill_count: 0
    .wavefront_size: 64
amdhsa.target:   amdgcn-amd-amdhsa--gfx950
amdhsa.version:
  - 1
  - 2
...

	.end_amdgpu_metadata
